;; amdgpu-corpus repo=ROCm/rocFFT kind=compiled arch=gfx906 opt=O3
	.text
	.amdgcn_target "amdgcn-amd-amdhsa--gfx906"
	.amdhsa_code_object_version 6
	.protected	fft_rtc_back_len143_factors_13_11_wgs_182_tpt_13_half_ip_CI_sbrr_dirReg ; -- Begin function fft_rtc_back_len143_factors_13_11_wgs_182_tpt_13_half_ip_CI_sbrr_dirReg
	.globl	fft_rtc_back_len143_factors_13_11_wgs_182_tpt_13_half_ip_CI_sbrr_dirReg
	.p2align	8
	.type	fft_rtc_back_len143_factors_13_11_wgs_182_tpt_13_half_ip_CI_sbrr_dirReg,@function
fft_rtc_back_len143_factors_13_11_wgs_182_tpt_13_half_ip_CI_sbrr_dirReg: ; @fft_rtc_back_len143_factors_13_11_wgs_182_tpt_13_half_ip_CI_sbrr_dirReg
; %bb.0:
	s_load_dwordx2 s[14:15], s[4:5], 0x18
	s_load_dwordx4 s[8:11], s[4:5], 0x0
	s_load_dwordx2 s[12:13], s[4:5], 0x50
	v_mul_u32_u24_e32 v1, 0x13b2, v0
	v_lshrrev_b32_e32 v1, 16, v1
	s_waitcnt lgkmcnt(0)
	s_load_dwordx2 s[2:3], s[14:15], 0x0
	v_mad_u64_u32 v[3:4], s[0:1], s6, 14, v[1:2]
	v_mov_b32_e32 v5, 0
	v_cmp_lt_u64_e64 s[0:1], s[10:11], 2
	v_mov_b32_e32 v4, v5
	v_mov_b32_e32 v1, 0
	;; [unrolled: 1-line block ×3, first 2 shown]
	s_and_b64 vcc, exec, s[0:1]
	v_mov_b32_e32 v2, 0
	v_mov_b32_e32 v9, v3
	s_cbranch_vccnz .LBB0_8
; %bb.1:
	s_load_dwordx2 s[0:1], s[4:5], 0x10
	s_add_u32 s6, s14, 8
	s_addc_u32 s7, s15, 0
	v_mov_b32_e32 v1, 0
	v_mov_b32_e32 v8, v4
	s_waitcnt lgkmcnt(0)
	s_add_u32 s18, s0, 8
	s_mov_b64 s[16:17], 1
	v_mov_b32_e32 v2, 0
	s_addc_u32 s19, s1, 0
	v_mov_b32_e32 v7, v3
.LBB0_2:                                ; =>This Inner Loop Header: Depth=1
	s_load_dwordx2 s[20:21], s[18:19], 0x0
                                        ; implicit-def: $vgpr9_vgpr10
	s_waitcnt lgkmcnt(0)
	v_or_b32_e32 v6, s21, v8
	v_cmp_ne_u64_e32 vcc, 0, v[5:6]
	s_and_saveexec_b64 s[0:1], vcc
	s_xor_b64 s[22:23], exec, s[0:1]
	s_cbranch_execz .LBB0_4
; %bb.3:                                ;   in Loop: Header=BB0_2 Depth=1
	v_cvt_f32_u32_e32 v4, s20
	v_cvt_f32_u32_e32 v6, s21
	s_sub_u32 s0, 0, s20
	s_subb_u32 s1, 0, s21
	v_mac_f32_e32 v4, 0x4f800000, v6
	v_rcp_f32_e32 v4, v4
	v_mul_f32_e32 v4, 0x5f7ffffc, v4
	v_mul_f32_e32 v6, 0x2f800000, v4
	v_trunc_f32_e32 v6, v6
	v_mac_f32_e32 v4, 0xcf800000, v6
	v_cvt_u32_f32_e32 v6, v6
	v_cvt_u32_f32_e32 v4, v4
	v_mul_lo_u32 v9, s0, v6
	v_mul_hi_u32 v10, s0, v4
	v_mul_lo_u32 v12, s1, v4
	v_mul_lo_u32 v11, s0, v4
	v_add_u32_e32 v9, v10, v9
	v_add_u32_e32 v9, v9, v12
	v_mul_hi_u32 v10, v4, v11
	v_mul_lo_u32 v12, v4, v9
	v_mul_hi_u32 v14, v4, v9
	v_mul_hi_u32 v13, v6, v11
	v_mul_lo_u32 v11, v6, v11
	v_mul_hi_u32 v15, v6, v9
	v_add_co_u32_e32 v10, vcc, v10, v12
	v_addc_co_u32_e32 v12, vcc, 0, v14, vcc
	v_mul_lo_u32 v9, v6, v9
	v_add_co_u32_e32 v10, vcc, v10, v11
	v_addc_co_u32_e32 v10, vcc, v12, v13, vcc
	v_addc_co_u32_e32 v11, vcc, 0, v15, vcc
	v_add_co_u32_e32 v9, vcc, v10, v9
	v_addc_co_u32_e32 v10, vcc, 0, v11, vcc
	v_add_co_u32_e32 v4, vcc, v4, v9
	v_addc_co_u32_e32 v6, vcc, v6, v10, vcc
	v_mul_lo_u32 v9, s0, v6
	v_mul_hi_u32 v10, s0, v4
	v_mul_lo_u32 v11, s1, v4
	v_mul_lo_u32 v12, s0, v4
	v_add_u32_e32 v9, v10, v9
	v_add_u32_e32 v9, v9, v11
	v_mul_lo_u32 v13, v4, v9
	v_mul_hi_u32 v14, v4, v12
	v_mul_hi_u32 v15, v4, v9
	;; [unrolled: 1-line block ×3, first 2 shown]
	v_mul_lo_u32 v12, v6, v12
	v_mul_hi_u32 v10, v6, v9
	v_add_co_u32_e32 v13, vcc, v14, v13
	v_addc_co_u32_e32 v14, vcc, 0, v15, vcc
	v_mul_lo_u32 v9, v6, v9
	v_add_co_u32_e32 v12, vcc, v13, v12
	v_addc_co_u32_e32 v11, vcc, v14, v11, vcc
	v_addc_co_u32_e32 v10, vcc, 0, v10, vcc
	v_add_co_u32_e32 v9, vcc, v11, v9
	v_addc_co_u32_e32 v10, vcc, 0, v10, vcc
	v_add_co_u32_e32 v4, vcc, v4, v9
	v_addc_co_u32_e32 v6, vcc, v6, v10, vcc
	v_mad_u64_u32 v[9:10], s[0:1], v7, v6, 0
	v_mul_hi_u32 v11, v7, v4
	v_add_co_u32_e32 v13, vcc, v11, v9
	v_addc_co_u32_e32 v14, vcc, 0, v10, vcc
	v_mad_u64_u32 v[9:10], s[0:1], v8, v4, 0
	v_mad_u64_u32 v[11:12], s[0:1], v8, v6, 0
	v_add_co_u32_e32 v4, vcc, v13, v9
	v_addc_co_u32_e32 v4, vcc, v14, v10, vcc
	v_addc_co_u32_e32 v6, vcc, 0, v12, vcc
	v_add_co_u32_e32 v4, vcc, v4, v11
	v_addc_co_u32_e32 v6, vcc, 0, v6, vcc
	v_mul_lo_u32 v11, s21, v4
	v_mul_lo_u32 v12, s20, v6
	v_mad_u64_u32 v[9:10], s[0:1], s20, v4, 0
	v_add3_u32 v10, v10, v12, v11
	v_sub_u32_e32 v11, v8, v10
	v_mov_b32_e32 v12, s21
	v_sub_co_u32_e32 v9, vcc, v7, v9
	v_subb_co_u32_e64 v11, s[0:1], v11, v12, vcc
	v_subrev_co_u32_e64 v12, s[0:1], s20, v9
	v_subbrev_co_u32_e64 v11, s[0:1], 0, v11, s[0:1]
	v_cmp_le_u32_e64 s[0:1], s21, v11
	v_cndmask_b32_e64 v13, 0, -1, s[0:1]
	v_cmp_le_u32_e64 s[0:1], s20, v12
	v_cndmask_b32_e64 v12, 0, -1, s[0:1]
	v_cmp_eq_u32_e64 s[0:1], s21, v11
	v_cndmask_b32_e64 v11, v13, v12, s[0:1]
	v_add_co_u32_e64 v12, s[0:1], 2, v4
	v_addc_co_u32_e64 v13, s[0:1], 0, v6, s[0:1]
	v_add_co_u32_e64 v14, s[0:1], 1, v4
	v_addc_co_u32_e64 v15, s[0:1], 0, v6, s[0:1]
	v_subb_co_u32_e32 v10, vcc, v8, v10, vcc
	v_cmp_ne_u32_e64 s[0:1], 0, v11
	v_cmp_le_u32_e32 vcc, s21, v10
	v_cndmask_b32_e64 v11, v15, v13, s[0:1]
	v_cndmask_b32_e64 v13, 0, -1, vcc
	v_cmp_le_u32_e32 vcc, s20, v9
	v_cndmask_b32_e64 v9, 0, -1, vcc
	v_cmp_eq_u32_e32 vcc, s21, v10
	v_cndmask_b32_e32 v9, v13, v9, vcc
	v_cmp_ne_u32_e32 vcc, 0, v9
	v_cndmask_b32_e32 v10, v6, v11, vcc
	v_cndmask_b32_e64 v6, v14, v12, s[0:1]
	v_cndmask_b32_e32 v9, v4, v6, vcc
.LBB0_4:                                ;   in Loop: Header=BB0_2 Depth=1
	s_andn2_saveexec_b64 s[0:1], s[22:23]
	s_cbranch_execz .LBB0_6
; %bb.5:                                ;   in Loop: Header=BB0_2 Depth=1
	v_cvt_f32_u32_e32 v4, s20
	s_sub_i32 s22, 0, s20
	v_rcp_iflag_f32_e32 v4, v4
	v_mul_f32_e32 v4, 0x4f7ffffe, v4
	v_cvt_u32_f32_e32 v4, v4
	v_mul_lo_u32 v6, s22, v4
	v_mul_hi_u32 v6, v4, v6
	v_add_u32_e32 v4, v4, v6
	v_mul_hi_u32 v4, v7, v4
	v_mul_lo_u32 v6, v4, s20
	v_add_u32_e32 v9, 1, v4
	v_sub_u32_e32 v6, v7, v6
	v_subrev_u32_e32 v10, s20, v6
	v_cmp_le_u32_e32 vcc, s20, v6
	v_cndmask_b32_e32 v6, v6, v10, vcc
	v_cndmask_b32_e32 v4, v4, v9, vcc
	v_add_u32_e32 v9, 1, v4
	v_cmp_le_u32_e32 vcc, s20, v6
	v_cndmask_b32_e32 v9, v4, v9, vcc
	v_mov_b32_e32 v10, v5
.LBB0_6:                                ;   in Loop: Header=BB0_2 Depth=1
	s_or_b64 exec, exec, s[0:1]
	v_mul_lo_u32 v4, v10, s20
	v_mul_lo_u32 v6, v9, s21
	v_mad_u64_u32 v[11:12], s[0:1], v9, s20, 0
	s_load_dwordx2 s[0:1], s[6:7], 0x0
	s_add_u32 s16, s16, 1
	v_add3_u32 v4, v12, v6, v4
	v_sub_co_u32_e32 v6, vcc, v7, v11
	v_subb_co_u32_e32 v4, vcc, v8, v4, vcc
	s_waitcnt lgkmcnt(0)
	v_mul_lo_u32 v4, s0, v4
	v_mul_lo_u32 v7, s1, v6
	v_mad_u64_u32 v[1:2], s[0:1], s0, v6, v[1:2]
	s_addc_u32 s17, s17, 0
	s_add_u32 s6, s6, 8
	v_add3_u32 v2, v7, v2, v4
	v_mov_b32_e32 v6, s10
	v_mov_b32_e32 v7, s11
	s_addc_u32 s7, s7, 0
	v_cmp_ge_u64_e32 vcc, s[16:17], v[6:7]
	s_add_u32 s18, s18, 8
	s_addc_u32 s19, s19, 0
	s_cbranch_vccnz .LBB0_8
; %bb.7:                                ;   in Loop: Header=BB0_2 Depth=1
	v_mov_b32_e32 v7, v9
	v_mov_b32_e32 v8, v10
	s_branch .LBB0_2
.LBB0_8:
	s_lshl_b64 s[0:1], s[10:11], 3
	s_add_u32 s0, s14, s0
	s_addc_u32 s1, s15, s1
	s_load_dwordx2 s[6:7], s[0:1], 0x0
	s_load_dwordx2 s[10:11], s[4:5], 0x20
                                        ; implicit-def: $vgpr12
                                        ; implicit-def: $vgpr13
                                        ; implicit-def: $vgpr7
                                        ; implicit-def: $vgpr14
                                        ; implicit-def: $vgpr8
                                        ; implicit-def: $vgpr15
                                        ; implicit-def: $vgpr16
                                        ; implicit-def: $vgpr17
                                        ; implicit-def: $vgpr11
	s_waitcnt lgkmcnt(0)
	v_mad_u64_u32 v[1:2], s[0:1], s6, v9, v[1:2]
	s_mov_b32 s0, 0x13b13b14
	v_mul_lo_u32 v4, s6, v10
	v_mul_lo_u32 v5, s7, v9
	v_mul_hi_u32 v6, v0, s0
	v_cmp_gt_u64_e32 vcc, s[10:11], v[9:10]
                                        ; implicit-def: $vgpr9
                                        ; implicit-def: $vgpr10
	v_add3_u32 v2, v5, v2, v4
	v_mul_u32_u24_e32 v4, 13, v6
	v_sub_u32_e32 v4, v0, v4
	v_mov_b32_e32 v0, 0
                                        ; implicit-def: $vgpr5
                                        ; implicit-def: $vgpr6
	s_and_saveexec_b64 s[4:5], vcc
	s_cbranch_execz .LBB0_12
; %bb.9:
	v_cmp_gt_u32_e64 s[0:1], 11, v4
                                        ; implicit-def: $vgpr11
                                        ; implicit-def: $vgpr17
                                        ; implicit-def: $vgpr10
                                        ; implicit-def: $vgpr16
                                        ; implicit-def: $vgpr9
                                        ; implicit-def: $vgpr15
                                        ; implicit-def: $vgpr8
                                        ; implicit-def: $vgpr14
                                        ; implicit-def: $vgpr7
                                        ; implicit-def: $vgpr13
                                        ; implicit-def: $vgpr6
                                        ; implicit-def: $vgpr12
                                        ; implicit-def: $vgpr5
	s_and_saveexec_b64 s[6:7], s[0:1]
	s_cbranch_execz .LBB0_11
; %bb.10:
	v_mad_u64_u32 v[5:6], s[0:1], s2, v4, 0
	v_add_u32_e32 v11, 11, v4
	v_mad_u64_u32 v[9:10], s[0:1], s2, v11, 0
	v_mov_b32_e32 v0, v6
	v_mad_u64_u32 v[6:7], s[0:1], s3, v4, v[0:1]
	v_lshlrev_b64 v[7:8], 2, v[1:2]
	v_mov_b32_e32 v0, s13
	v_add_co_u32_e64 v13, s[0:1], s12, v7
	v_addc_co_u32_e64 v14, s[0:1], v0, v8, s[0:1]
	v_mov_b32_e32 v0, v10
	v_mad_u64_u32 v[7:8], s[0:1], s3, v11, v[0:1]
	v_add_u32_e32 v8, 22, v4
	v_mad_u64_u32 v[11:12], s[0:1], s2, v8, 0
	v_lshlrev_b64 v[5:6], 2, v[5:6]
	v_mov_b32_e32 v10, v7
	v_add_co_u32_e64 v18, s[0:1], v13, v5
	v_mov_b32_e32 v0, v12
	v_addc_co_u32_e64 v19, s[0:1], v14, v6, s[0:1]
	v_lshlrev_b64 v[5:6], 2, v[9:10]
	v_mad_u64_u32 v[7:8], s[0:1], s3, v8, v[0:1]
	v_add_u32_e32 v10, 33, v4
	v_mad_u64_u32 v[8:9], s[0:1], s2, v10, 0
	v_add_co_u32_e64 v20, s[0:1], v13, v5
	v_mov_b32_e32 v0, v9
	v_addc_co_u32_e64 v21, s[0:1], v14, v6, s[0:1]
	v_mov_b32_e32 v12, v7
	v_mad_u64_u32 v[9:10], s[0:1], s3, v10, v[0:1]
	v_add_u32_e32 v7, 44, v4
	v_lshlrev_b64 v[5:6], 2, v[11:12]
	v_mad_u64_u32 v[10:11], s[0:1], s2, v7, 0
	v_add_co_u32_e64 v22, s[0:1], v13, v5
	v_mov_b32_e32 v0, v11
	v_addc_co_u32_e64 v23, s[0:1], v14, v6, s[0:1]
	v_lshlrev_b64 v[5:6], 2, v[8:9]
	v_mad_u64_u32 v[7:8], s[0:1], s3, v7, v[0:1]
	v_add_u32_e32 v12, 55, v4
	v_mad_u64_u32 v[8:9], s[0:1], s2, v12, 0
	v_add_co_u32_e64 v24, s[0:1], v13, v5
	v_mov_b32_e32 v11, v7
	v_mov_b32_e32 v0, v9
	v_addc_co_u32_e64 v25, s[0:1], v14, v6, s[0:1]
	v_lshlrev_b64 v[5:6], 2, v[10:11]
	v_mad_u64_u32 v[9:10], s[0:1], s3, v12, v[0:1]
	v_add_u32_e32 v7, 0x42, v4
	v_mad_u64_u32 v[10:11], s[0:1], s2, v7, 0
	v_add_co_u32_e64 v26, s[0:1], v13, v5
	v_mov_b32_e32 v0, v11
	v_addc_co_u32_e64 v27, s[0:1], v14, v6, s[0:1]
	v_lshlrev_b64 v[5:6], 2, v[8:9]
	v_mad_u64_u32 v[7:8], s[0:1], s3, v7, v[0:1]
	v_add_u32_e32 v12, 0x4d, v4
	v_mad_u64_u32 v[8:9], s[0:1], s2, v12, 0
	v_add_co_u32_e64 v28, s[0:1], v13, v5
	v_mov_b32_e32 v11, v7
	v_mov_b32_e32 v0, v9
	v_addc_co_u32_e64 v29, s[0:1], v14, v6, s[0:1]
	v_lshlrev_b64 v[5:6], 2, v[10:11]
	v_mad_u64_u32 v[9:10], s[0:1], s3, v12, v[0:1]
	v_add_u32_e32 v7, 0x58, v4
	;; [unrolled: 15-line block ×4, first 2 shown]
	v_mad_u64_u32 v[10:11], s[0:1], s2, v7, 0
	v_add_co_u32_e64 v38, s[0:1], v13, v5
	v_mov_b32_e32 v0, v11
	v_addc_co_u32_e64 v39, s[0:1], v14, v6, s[0:1]
	v_lshlrev_b64 v[5:6], 2, v[8:9]
	v_mad_u64_u32 v[7:8], s[0:1], s3, v7, v[0:1]
	v_add_co_u32_e64 v40, s[0:1], v13, v5
	v_mov_b32_e32 v11, v7
	v_addc_co_u32_e64 v41, s[0:1], v14, v6, s[0:1]
	v_lshlrev_b64 v[5:6], 2, v[10:11]
	v_add_co_u32_e64 v42, s[0:1], v13, v5
	v_addc_co_u32_e64 v43, s[0:1], v14, v6, s[0:1]
	global_load_dword v5, v[18:19], off
	global_load_dword v17, v[20:21], off
	;; [unrolled: 1-line block ×13, first 2 shown]
.LBB0_11:
	s_or_b64 exec, exec, s[6:7]
	v_mov_b32_e32 v0, v4
.LBB0_12:
	s_or_b64 exec, exec, s[4:5]
	v_lshrrev_b32_e32 v18, 1, v3
	s_mov_b32 s0, 0x92492493
	v_mul_hi_u32 v18, v18, s0
	v_cmp_gt_u32_e64 s[0:1], 11, v4
	v_lshrrev_b32_e32 v18, 2, v18
	v_mul_lo_u32 v18, v18, 14
	v_sub_u32_e32 v3, v3, v18
	v_mul_u32_u24_e32 v3, 0x8f, v3
	v_lshlrev_b32_e32 v3, 2, v3
	s_and_saveexec_b64 s[4:5], s[0:1]
	s_cbranch_execz .LBB0_14
; %bb.13:
	s_waitcnt vmcnt(0)
	v_pk_add_f16 v18, v17, v11
	v_pk_add_f16 v19, v17, v11 neg_lo:[0,1] neg_hi:[0,1]
	v_pk_add_f16 v20, v16, v10
	v_pk_add_f16 v21, v16, v10 neg_lo:[0,1] neg_hi:[0,1]
	v_lshrrev_b32_e32 v22, 16, v18
	v_mul_f16_e32 v23, 0xb94e, v19
	s_mov_b32 s0, 0xb9fd
	v_lshrrev_b32_e32 v25, 16, v20
	v_mul_f16_e32 v26, 0x3bf1, v21
	s_movk_i32 s1, 0x2fb7
	s_movk_i32 s6, 0x388b
	s_movk_i32 s7, 0x3b15
	s_mov_b32 s10, 0xb5ac
	v_mul_f16_e32 v27, 0xbb7b, v19
	v_mul_f16_e32 v29, 0xbbf1, v19
	;; [unrolled: 1-line block ×4, first 2 shown]
	s_mov_b32 s11, 0xbbc4
	v_mul_f16_e32 v35, 0x394e, v21
	v_mul_f16_e32 v37, 0xb3a8, v21
	;; [unrolled: 1-line block ×4, first 2 shown]
	v_fma_f16 v24, v22, s0, -v23
	v_fma_f16 v28, v22, s10, -v27
	v_fma_f16 v30, v22, s1, -v29
	v_fma_f16 v32, v22, s6, -v31
	v_fma_f16 v34, v22, s7, -v33
	v_fma_f16 v23, v22, s0, v23
	v_fma_f16 v27, v22, s10, v27
	;; [unrolled: 1-line block ×5, first 2 shown]
	v_fma_f16 v33, v25, s1, -v26
	v_fma_f16 v26, v25, s1, v26
	v_fma_f16 v36, v25, s0, -v35
	v_fma_f16 v35, v25, s0, v35
	v_fma_f16 v38, v25, s11, -v37
	v_fma_f16 v37, v25, s11, v37
	v_fma_f16 v40, v25, s10, -v39
	v_fma_f16 v39, v25, s10, v39
	v_fma_f16 v42, v25, s6, -v41
	v_fma_f16 v25, v25, s6, v41
	v_pk_add_f16 v41, v15, v9
	v_pk_add_f16 v43, v15, v9 neg_lo:[0,1] neg_hi:[0,1]
	v_lshrrev_b32_e32 v44, 16, v41
	v_mul_f16_e32 v45, 0xba95, v43
	v_mul_f16_e32 v47, 0x3770, v43
	v_mul_f16_e32 v49, 0x3b7b, v43
	v_mul_f16_e32 v51, 0xb3a8, v43
	v_mul_f16_e32 v53, 0xbbf1, v43
	v_fma_f16 v46, v44, s6, -v45
	v_fma_f16 v45, v44, s6, v45
	v_fma_f16 v48, v44, s7, -v47
	v_fma_f16 v47, v44, s7, v47
	v_fma_f16 v50, v44, s10, -v49
	v_fma_f16 v49, v44, s10, v49
	v_fma_f16 v52, v44, s11, -v51
	v_fma_f16 v51, v44, s11, v51
	v_fma_f16 v54, v44, s1, -v53
	v_fma_f16 v44, v44, s1, v53
	v_pk_add_f16 v53, v14, v8
	v_pk_add_f16 v55, v14, v8 neg_lo:[0,1] neg_hi:[0,1]
	v_lshrrev_b32_e32 v56, 16, v53
	v_mul_f16_e32 v57, 0x33a8, v55
	v_mul_f16_e32 v59, 0xbbf1, v55
	v_mul_f16_e32 v61, 0x3770, v55
	v_mul_f16_e32 v63, 0x394e, v55
	v_mul_f16_e32 v65, 0xbb7b, v55
	;; [unrolled: 18-line block ×4, first 2 shown]
	s_mov_b32 s15, 0xb3a8
	v_fma_f16 v82, v80, s10, -v81
	v_fma_f16 v81, v80, s10, v81
	v_fma_f16 v84, v80, s6, -v83
	v_fma_f16 v83, v80, s6, v83
	;; [unrolled: 2-line block ×5, first 2 shown]
	s_movk_i32 s14, 0x3770
	v_pk_mul_f16 v89, v19, s15 op_sel_hi:[1,0]
	v_pk_fma_f16 v91, v18, s11, v89 op_sel:[0,0,1] op_sel_hi:[1,0,0]
	v_pk_mul_f16 v92, v21, s14 op_sel_hi:[1,0]
	v_pk_add_f16 v91, v91, v5
	v_pk_fma_f16 v93, v20, s7, v92 op_sel:[0,0,1] op_sel_hi:[1,0,0]
	s_mov_b32 s16, 0xb94e
	v_pk_add_f16 v91, v93, v91
	v_pk_mul_f16 v93, v43, s16 op_sel_hi:[1,0]
	v_add_f16_sdwa v24, v24, v5 dst_sel:DWORD dst_unused:UNUSED_PAD src0_sel:DWORD src1_sel:WORD_1
	v_pk_fma_f16 v94, v41, s0, v93 op_sel:[0,0,1] op_sel_hi:[1,0,0]
	s_movk_i32 s17, 0x3a95
	v_add_f16_e32 v24, v33, v24
	v_pk_add_f16 v91, v94, v91
	v_pk_mul_f16 v94, v55, s17 op_sel_hi:[1,0]
	s_movk_i32 s19, 0x3bf1
	v_add_f16_e32 v24, v46, v24
	v_mul_f16_sdwa v33, v19, s16 dst_sel:DWORD dst_unused:UNUSED_PAD src0_sel:WORD_1 src1_sel:DWORD
	v_pk_fma_f16 v95, v53, s6, v94 op_sel:[0,0,1] op_sel_hi:[1,0,0]
	s_mov_b32 s18, 0xbb7b
	v_add_f16_e32 v24, v58, v24
	v_fma_f16 v46, v18, s0, v33
	v_mul_f16_sdwa v58, v21, s19 dst_sel:DWORD dst_unused:UNUSED_PAD src0_sel:WORD_1 src1_sel:DWORD
	v_pk_add_f16 v91, v95, v91
	v_pk_mul_f16 v95, v67, s18 op_sel_hi:[1,0]
	v_add_f16_e32 v24, v70, v24
	v_add_f16_e32 v46, v46, v5
	v_fma_f16 v70, v20, s1, v58
	s_mov_b32 s20, 0xba95
	v_pk_fma_f16 v96, v65, s10, v95 op_sel:[0,0,1] op_sel_hi:[1,0,0]
	v_add_f16_e32 v46, v70, v46
	v_mul_f16_sdwa v70, v43, s20 dst_sel:DWORD dst_unused:UNUSED_PAD src0_sel:WORD_1 src1_sel:DWORD
	v_add_f16_sdwa v28, v28, v5 dst_sel:DWORD dst_unused:UNUSED_PAD src0_sel:DWORD src1_sel:WORD_1
	v_pk_add_f16 v91, v96, v91
	v_pk_mul_f16 v96, v79, s19 op_sel_hi:[1,0]
	v_add_f16_e32 v24, v82, v24
	v_fma_f16 v82, v41, s6, v70
	s_movk_i32 s21, 0x33a8
	v_add_f16_e32 v28, v36, v28
	v_pk_fma_f16 v97, v77, s1, v96 op_sel:[0,0,1] op_sel_hi:[1,0,0]
	v_add_f16_e32 v46, v82, v46
	v_mul_f16_sdwa v82, v55, s21 dst_sel:DWORD dst_unused:UNUSED_PAD src0_sel:WORD_1 src1_sel:DWORD
	v_add_f16_e32 v28, v48, v28
	s_movk_i32 s22, 0x394e
	v_mul_f16_sdwa v36, v19, s18 dst_sel:DWORD dst_unused:UNUSED_PAD src0_sel:WORD_1 src1_sel:DWORD
	v_pk_add_f16 v91, v97, v91
	v_fma_f16 v97, v53, s11, v82
	v_add_f16_e32 v28, v60, v28
	v_fma_f16 v48, v18, s10, v36
	v_mul_f16_sdwa v60, v21, s22 dst_sel:DWORD dst_unused:UNUSED_PAD src0_sel:WORD_1 src1_sel:DWORD
	v_add_f16_e32 v46, v97, v46
	v_mul_f16_sdwa v97, v67, s14 dst_sel:DWORD dst_unused:UNUSED_PAD src0_sel:WORD_1 src1_sel:DWORD
	v_add_f16_e32 v28, v72, v28
	v_add_f16_e32 v48, v48, v5
	v_fma_f16 v72, v20, s0, v60
	v_fma_f16 v98, v65, s7, v97
	v_add_f16_e32 v48, v72, v48
	v_mul_f16_sdwa v72, v43, s14 dst_sel:DWORD dst_unused:UNUSED_PAD src0_sel:WORD_1 src1_sel:DWORD
	v_add_f16_e32 v46, v98, v46
	v_mul_f16_sdwa v98, v79, s18 dst_sel:DWORD dst_unused:UNUSED_PAD src0_sel:WORD_1 src1_sel:DWORD
	v_add_f16_e32 v28, v84, v28
	v_fma_f16 v84, v41, s7, v72
	s_mov_b32 s23, 0xbbf1
	v_fma_f16 v99, v77, s10, v98
	v_add_f16_e32 v48, v84, v48
	v_mul_f16_sdwa v84, v55, s23 dst_sel:DWORD dst_unused:UNUSED_PAD src0_sel:WORD_1 src1_sel:DWORD
	v_add_f16_sdwa v30, v30, v5 dst_sel:DWORD dst_unused:UNUSED_PAD src0_sel:DWORD src1_sel:WORD_1
	v_add_f16_e32 v46, v99, v46
	v_fma_f16 v99, v53, s1, v84
	v_add_f16_e32 v30, v38, v30
	v_add_f16_e32 v48, v99, v48
	v_mul_f16_sdwa v99, v67, s21 dst_sel:DWORD dst_unused:UNUSED_PAD src0_sel:WORD_1 src1_sel:DWORD
	v_add_f16_e32 v30, v50, v30
	v_mul_f16_sdwa v38, v19, s23 dst_sel:DWORD dst_unused:UNUSED_PAD src0_sel:WORD_1 src1_sel:DWORD
	v_fma_f16 v100, v65, s11, v99
	v_add_f16_e32 v30, v62, v30
	v_fma_f16 v50, v18, s1, v38
	v_mul_f16_sdwa v62, v21, s15 dst_sel:DWORD dst_unused:UNUSED_PAD src0_sel:WORD_1 src1_sel:DWORD
	v_add_f16_e32 v48, v100, v48
	v_mul_f16_sdwa v100, v79, s17 dst_sel:DWORD dst_unused:UNUSED_PAD src0_sel:WORD_1 src1_sel:DWORD
	v_add_f16_e32 v30, v74, v30
	v_add_f16_e32 v50, v50, v5
	v_fma_f16 v74, v20, s11, v62
	s_movk_i32 s17, 0x3b7b
	v_add_f16_e32 v50, v74, v50
	v_mul_f16_sdwa v74, v43, s17 dst_sel:DWORD dst_unused:UNUSED_PAD src0_sel:WORD_1 src1_sel:DWORD
	v_add_f16_sdwa v32, v32, v5 dst_sel:DWORD dst_unused:UNUSED_PAD src0_sel:DWORD src1_sel:WORD_1
	v_add_f16_e32 v30, v86, v30
	v_fma_f16 v86, v41, s10, v74
	v_add_f16_e32 v32, v40, v32
	v_fma_f16 v101, v77, s6, v100
	v_add_f16_e32 v50, v86, v50
	v_mul_f16_sdwa v86, v55, s14 dst_sel:DWORD dst_unused:UNUSED_PAD src0_sel:WORD_1 src1_sel:DWORD
	v_add_f16_e32 v32, v52, v32
	v_mul_f16_sdwa v40, v19, s20 dst_sel:DWORD dst_unused:UNUSED_PAD src0_sel:WORD_1 src1_sel:DWORD
	v_add_f16_e32 v48, v101, v48
	v_fma_f16 v101, v53, s7, v86
	v_add_f16_e32 v32, v64, v32
	v_fma_f16 v52, v18, s6, v40
	v_mul_f16_sdwa v64, v21, s18 dst_sel:DWORD dst_unused:UNUSED_PAD src0_sel:WORD_1 src1_sel:DWORD
	v_add_f16_e32 v50, v101, v50
	v_mul_f16_sdwa v101, v67, s20 dst_sel:DWORD dst_unused:UNUSED_PAD src0_sel:WORD_1 src1_sel:DWORD
	v_add_f16_e32 v32, v76, v32
	v_add_f16_e32 v52, v52, v5
	v_fma_f16 v76, v20, s10, v64
	v_fma_f16 v102, v65, s6, v101
	v_add_f16_e32 v52, v76, v52
	v_mul_f16_sdwa v76, v43, s15 dst_sel:DWORD dst_unused:UNUSED_PAD src0_sel:WORD_1 src1_sel:DWORD
	v_add_f16_e32 v50, v102, v50
	v_mul_f16_sdwa v102, v79, s16 dst_sel:DWORD dst_unused:UNUSED_PAD src0_sel:WORD_1 src1_sel:DWORD
	v_add_f16_e32 v32, v88, v32
	v_fma_f16 v88, v41, s11, v76
	v_fma_f16 v103, v77, s0, v102
	v_add_f16_e32 v52, v88, v52
	v_mul_f16_sdwa v88, v55, s22 dst_sel:DWORD dst_unused:UNUSED_PAD src0_sel:WORD_1 src1_sel:DWORD
	v_add_f16_e32 v50, v103, v50
	v_fma_f16 v103, v53, s0, v88
	v_add_f16_e32 v52, v103, v52
	v_mul_f16_sdwa v103, v67, s19 dst_sel:DWORD dst_unused:UNUSED_PAD src0_sel:WORD_1 src1_sel:DWORD
	v_fma_f16 v104, v65, s1, v103
	v_add_f16_e32 v52, v104, v52
	v_mul_f16_sdwa v104, v79, s14 dst_sel:DWORD dst_unused:UNUSED_PAD src0_sel:WORD_1 src1_sel:DWORD
	s_mov_b32 s14, 0xb770
	v_add_f16_sdwa v34, v34, v5 dst_sel:DWORD dst_unused:UNUSED_PAD src0_sel:DWORD src1_sel:WORD_1
	v_mul_f16_sdwa v19, v19, s14 dst_sel:DWORD dst_unused:UNUSED_PAD src0_sel:WORD_1 src1_sel:DWORD
	v_add_f16_e32 v34, v42, v34
	v_mul_f16_sdwa v21, v21, s20 dst_sel:DWORD dst_unused:UNUSED_PAD src0_sel:WORD_1 src1_sel:DWORD
	v_fma_f16 v42, v18, s7, v19
	v_fma_f16 v33, v18, s0, -v33
	v_fma_f16 v36, v18, s10, -v36
	;; [unrolled: 1-line block ×5, first 2 shown]
	v_pk_fma_f16 v18, v18, s11, v89 op_sel:[0,0,1] op_sel_hi:[1,0,0] neg_lo:[0,0,1] neg_hi:[0,0,1]
	v_add_f16_sdwa v23, v23, v5 dst_sel:DWORD dst_unused:UNUSED_PAD src0_sel:DWORD src1_sel:WORD_1
	v_add_f16_e32 v34, v54, v34
	v_fma_f16 v54, v20, s6, v21
	v_fma_f16 v58, v20, s1, -v58
	v_fma_f16 v60, v20, s0, -v60
	;; [unrolled: 1-line block ×5, first 2 shown]
	v_pk_fma_f16 v20, v20, s7, v92 op_sel:[0,0,1] op_sel_hi:[1,0,0] neg_lo:[0,0,1] neg_hi:[0,0,1]
	v_pk_add_f16 v18, v18, v5
	v_add_f16_e32 v23, v26, v23
	v_add_f16_e32 v26, v33, v5
	v_pk_add_f16 v18, v20, v18
	v_fma_f16 v20, v41, s6, -v70
	v_add_f16_e32 v26, v58, v26
	v_add_f16_e32 v42, v42, v5
	v_mul_f16_sdwa v43, v43, s23 dst_sel:DWORD dst_unused:UNUSED_PAD src0_sel:WORD_1 src1_sel:DWORD
	v_add_f16_e32 v20, v20, v26
	v_add_f16_sdwa v26, v27, v5 dst_sel:DWORD dst_unused:UNUSED_PAD src0_sel:DWORD src1_sel:WORD_1
	v_add_f16_e32 v42, v54, v42
	v_fma_f16 v54, v41, s1, v43
	v_add_f16_e32 v26, v35, v26
	v_add_f16_e32 v27, v36, v5
	v_add_f16_sdwa v29, v29, v5 dst_sel:DWORD dst_unused:UNUSED_PAD src0_sel:DWORD src1_sel:WORD_1
	v_add_f16_e32 v33, v38, v5
	v_add_f16_sdwa v31, v31, v5 dst_sel:DWORD dst_unused:UNUSED_PAD src0_sel:DWORD src1_sel:WORD_1
	v_add_f16_e32 v35, v40, v5
	v_add_f16_sdwa v22, v22, v5 dst_sel:DWORD dst_unused:UNUSED_PAD src0_sel:DWORD src1_sel:WORD_1
	v_add_f16_e32 v19, v19, v5
	v_pk_add_f16 v5, v17, v5
	v_add_f16_e32 v42, v54, v42
	v_mul_f16_sdwa v54, v55, s18 dst_sel:DWORD dst_unused:UNUSED_PAD src0_sel:WORD_1 src1_sel:DWORD
	v_pk_add_f16 v5, v16, v5
	v_fma_f16 v55, v53, s10, v54
	v_pk_add_f16 v5, v15, v5
	v_add_f16_e32 v42, v55, v42
	v_mul_f16_sdwa v55, v67, s16 dst_sel:DWORD dst_unused:UNUSED_PAD src0_sel:WORD_1 src1_sel:DWORD
	v_pk_add_f16 v5, v14, v5
	v_add_f16_e32 v34, v66, v34
	v_fma_f16 v66, v65, s0, v55
	v_pk_add_f16 v5, v13, v5
	v_add_f16_e32 v42, v66, v42
	v_mul_f16_sdwa v66, v79, s15 dst_sel:DWORD dst_unused:UNUSED_PAD src0_sel:WORD_1 src1_sel:DWORD
	v_pk_add_f16 v5, v12, v5
	v_fma_f16 v67, v77, s11, v66
	v_pk_add_f16 v5, v6, v5
	v_fma_f16 v105, v77, s7, v104
	v_add_f16_e32 v34, v78, v34
	v_add_f16_e32 v42, v67, v42
	v_fma_f16 v67, v41, s7, -v72
	v_fma_f16 v70, v41, s10, -v74
	;; [unrolled: 1-line block ×4, first 2 shown]
	v_pk_fma_f16 v41, v41, s0, v93 op_sel:[0,0,1] op_sel_hi:[1,0,0] neg_lo:[0,0,1] neg_hi:[0,0,1]
	v_pk_add_f16 v5, v7, v5
	v_add_f16_e32 v52, v105, v52
	v_add_f16_e32 v34, v90, v34
	v_pk_add_f16 v18, v41, v18
	v_fma_f16 v41, v53, s11, -v82
	v_fma_f16 v74, v53, s1, -v84
	;; [unrolled: 1-line block ×5, first 2 shown]
	v_pk_fma_f16 v53, v53, s6, v94 op_sel:[0,0,1] op_sel_hi:[1,0,0] neg_lo:[0,0,1] neg_hi:[0,0,1]
	v_add_f16_e32 v27, v60, v27
	v_mul_u32_u24_e32 v12, 52, v4
	v_pk_add_f16 v5, v8, v5
	v_pk_add_f16 v18, v53, v18
	v_fma_f16 v53, v65, s7, -v97
	v_fma_f16 v79, v65, s11, -v99
	;; [unrolled: 1-line block ×5, first 2 shown]
	v_pk_fma_f16 v65, v65, s10, v95 op_sel:[0,0,1] op_sel_hi:[1,0,0] neg_lo:[0,0,1] neg_hi:[0,0,1]
	v_add_f16_e32 v23, v45, v23
	v_add_f16_e32 v26, v47, v26
	;; [unrolled: 1-line block ×7, first 2 shown]
	v_add3_u32 v12, 0, v12, v3
	v_pk_add_f16 v5, v9, v5
	v_pack_b32_f16 v6, v52, v32
	v_pack_b32_f16 v7, v42, v34
	v_pk_add_f16 v18, v65, v18
	v_fma_f16 v65, v77, s10, -v98
	v_fma_f16 v86, v77, s6, -v100
	;; [unrolled: 1-line block ×5, first 2 shown]
	v_pk_fma_f16 v77, v77, s1, v96 op_sel:[0,0,1] op_sel_hi:[1,0,0] neg_lo:[0,0,1] neg_hi:[0,0,1]
	v_add_f16_e32 v23, v57, v23
	v_add_f16_e32 v20, v41, v20
	;; [unrolled: 1-line block ×10, first 2 shown]
	v_pk_add_f16 v5, v10, v5
	ds_write2_b32 v12, v7, v6 offset0:1 offset1:2
	v_pack_b32_f16 v6, v48, v28
	v_pack_b32_f16 v7, v50, v30
	v_pk_add_f16 v18, v77, v18
	v_add_f16_e32 v23, v69, v23
	v_add_f16_e32 v20, v53, v20
	;; [unrolled: 1-line block ×10, first 2 shown]
	v_pk_add_f16 v5, v11, v5
	ds_write2_b32 v12, v7, v6 offset0:3 offset1:4
	v_pack_b32_f16 v6, v46, v24
	s_mov_b32 s0, 0xffff
	v_add_f16_e32 v23, v81, v23
	v_add_f16_e32 v20, v65, v20
	;; [unrolled: 1-line block ×10, first 2 shown]
	ds_write2_b32 v12, v5, v6 offset1:5
	v_bfi_b32 v5, s0, v18, v91
	v_bfi_b32 v6, s0, v91, v18
	v_add_f16_e32 v29, v85, v29
	v_add_f16_e32 v33, v88, v33
	;; [unrolled: 1-line block ×6, first 2 shown]
	ds_write2_b32 v12, v6, v5 offset0:6 offset1:7
	v_pack_b32_f16 v5, v27, v26
	v_pack_b32_f16 v6, v20, v23
	v_add_f16_e32 v22, v80, v22
	v_add_f16_e32 v19, v66, v19
	ds_write2_b32 v12, v6, v5 offset0:8 offset1:9
	v_pack_b32_f16 v5, v35, v31
	v_pack_b32_f16 v6, v33, v29
	ds_write2_b32 v12, v6, v5 offset0:10 offset1:11
	v_pack_b32_f16 v5, v19, v22
	ds_write_b32 v12, v5 offset:48
.LBB0_14:
	s_or_b64 exec, exec, s[4:5]
	s_waitcnt vmcnt(0) lgkmcnt(0)
	s_barrier
	s_and_saveexec_b64 s[0:1], vcc
	s_cbranch_execz .LBB0_16
; %bb.15:
	v_mul_u32_u24_e32 v5, 10, v4
	v_lshlrev_b32_e32 v15, 2, v5
	global_load_dwordx4 v[5:8], v15, s[8:9]
	global_load_dwordx2 v[13:14], v15, s[8:9] offset:32
	global_load_dwordx4 v[9:12], v15, s[8:9] offset:16
	v_lshlrev_b32_e32 v4, 2, v4
	v_add3_u32 v21, 0, v4, v3
	v_add3_u32 v17, 0, v3, v4
	ds_read2_b32 v[3:4], v21 offset0:13 offset1:26
	ds_read2_b32 v[15:16], v21 offset0:117 offset1:130
	ds_read_b32 v23, v17
	ds_read2_b32 v[17:18], v21 offset0:39 offset1:52
	ds_read2_b32 v[19:20], v21 offset0:91 offset1:104
	;; [unrolled: 1-line block ×3, first 2 shown]
	s_waitcnt lgkmcnt(5)
	v_lshrrev_b32_e32 v24, 16, v3
	s_waitcnt lgkmcnt(4)
	v_lshrrev_b32_e32 v25, 16, v16
	v_lshrrev_b32_e32 v26, 16, v4
	;; [unrolled: 1-line block ×3, first 2 shown]
	s_waitcnt lgkmcnt(2)
	v_lshrrev_b32_e32 v28, 16, v17
	s_waitcnt lgkmcnt(1)
	v_lshrrev_b32_e32 v29, 16, v20
	v_lshrrev_b32_e32 v30, 16, v18
	;; [unrolled: 1-line block ×3, first 2 shown]
	s_mov_b32 s0, 0xbbad
	s_waitcnt lgkmcnt(0)
	v_lshrrev_b32_e32 v32, 16, v21
	v_lshrrev_b32_e32 v33, 16, v22
	s_movk_i32 s4, 0x3abb
	s_mov_b32 s5, 0xb93d
	s_movk_i32 s8, 0x36a6
	s_mov_b32 s11, 0xb08e
	;; [unrolled: 2-line block ×3, first 2 shown]
	s_movk_i32 s7, 0x3853
	s_movk_i32 s15, 0x3482
	s_mov_b32 s16, 0xbb47
	s_movk_i32 s17, 0x3beb
	s_mov_b32 s1, 0xb482
	s_mov_b32 s6, 0xba0c
	;; [unrolled: 1-line block ×3, first 2 shown]
	s_movk_i32 s10, 0x3b47
	v_lshlrev_b64 v[1:2], 2, v[1:2]
	s_waitcnt vmcnt(2)
	v_mul_f16_sdwa v34, v5, v24 dst_sel:DWORD dst_unused:UNUSED_PAD src0_sel:WORD_1 src1_sel:DWORD
	s_waitcnt vmcnt(1)
	v_mul_f16_sdwa v35, v14, v25 dst_sel:DWORD dst_unused:UNUSED_PAD src0_sel:WORD_1 src1_sel:DWORD
	v_mul_f16_sdwa v36, v16, v14 dst_sel:DWORD dst_unused:UNUSED_PAD src0_sel:DWORD src1_sel:WORD_1
	v_mul_f16_sdwa v37, v5, v3 dst_sel:DWORD dst_unused:UNUSED_PAD src0_sel:WORD_1 src1_sel:DWORD
	v_mul_f16_sdwa v38, v6, v26 dst_sel:DWORD dst_unused:UNUSED_PAD src0_sel:WORD_1 src1_sel:DWORD
	;; [unrolled: 1-line block ×4, first 2 shown]
	v_fma_f16 v3, v5, v3, v34
	v_fma_f16 v16, v14, v16, v35
	v_mul_f16_sdwa v40, v15, v13 dst_sel:DWORD dst_unused:UNUSED_PAD src0_sel:DWORD src1_sel:WORD_1
	v_mul_f16_sdwa v42, v7, v28 dst_sel:DWORD dst_unused:UNUSED_PAD src0_sel:WORD_1 src1_sel:DWORD
	s_waitcnt vmcnt(0)
	v_mul_f16_sdwa v43, v12, v29 dst_sel:DWORD dst_unused:UNUSED_PAD src0_sel:WORD_1 src1_sel:DWORD
	v_mul_f16_sdwa v45, v7, v17 dst_sel:DWORD dst_unused:UNUSED_PAD src0_sel:WORD_1 src1_sel:DWORD
	v_fma_f16 v14, v14, v25, -v36
	v_fma_f16 v5, v5, v24, -v37
	v_fma_f16 v4, v6, v4, v38
	v_fma_f16 v15, v13, v15, v39
	v_fma_f16 v6, v6, v26, -v41
	v_sub_f16_e32 v26, v3, v16
	v_mul_f16_sdwa v44, v20, v12 dst_sel:DWORD dst_unused:UNUSED_PAD src0_sel:DWORD src1_sel:WORD_1
	v_mul_f16_sdwa v46, v8, v30 dst_sel:DWORD dst_unused:UNUSED_PAD src0_sel:WORD_1 src1_sel:DWORD
	v_mul_f16_sdwa v47, v11, v31 dst_sel:DWORD dst_unused:UNUSED_PAD src0_sel:WORD_1 src1_sel:DWORD
	;; [unrolled: 1-line block ×3, first 2 shown]
	v_fma_f16 v13, v13, v27, -v40
	v_fma_f16 v17, v7, v17, v42
	v_fma_f16 v20, v12, v20, v43
	v_fma_f16 v7, v7, v28, -v45
	v_add_f16_e32 v27, v5, v14
	v_sub_f16_e32 v28, v4, v15
	v_mul_f16_e32 v37, 0xb482, v26
	v_mul_f16_sdwa v48, v19, v11 dst_sel:DWORD dst_unused:UNUSED_PAD src0_sel:DWORD src1_sel:WORD_1
	v_mul_f16_sdwa v50, v9, v32 dst_sel:DWORD dst_unused:UNUSED_PAD src0_sel:WORD_1 src1_sel:DWORD
	v_mul_f16_sdwa v51, v10, v33 dst_sel:DWORD dst_unused:UNUSED_PAD src0_sel:WORD_1 src1_sel:DWORD
	v_fma_f16 v12, v12, v29, -v44
	v_fma_f16 v18, v8, v18, v46
	v_fma_f16 v19, v11, v19, v47
	v_fma_f16 v8, v8, v30, -v49
	v_add_f16_e32 v29, v6, v13
	v_sub_f16_e32 v30, v17, v20
	v_mul_f16_e32 v38, 0x3853, v28
	v_fma_f16 v42, v27, s0, v37
	v_fma_f16 v11, v11, v31, -v48
	v_fma_f16 v24, v9, v21, v50
	v_fma_f16 v25, v10, v22, v51
	v_add_f16_e32 v31, v7, v12
	v_sub_f16_e32 v34, v18, v19
	v_mul_f16_e32 v39, 0xba0c, v30
	v_fma_f16 v43, v29, s4, v38
	v_add_f16_sdwa v42, v42, v23 dst_sel:DWORD dst_unused:UNUSED_PAD src0_sel:DWORD src1_sel:WORD_1
	v_mul_f16_sdwa v22, v22, v10 dst_sel:DWORD dst_unused:UNUSED_PAD src0_sel:DWORD src1_sel:WORD_1
	v_mul_f16_sdwa v21, v9, v21 dst_sel:DWORD dst_unused:UNUSED_PAD src0_sel:WORD_1 src1_sel:DWORD
	v_add_f16_e32 v35, v8, v11
	v_sub_f16_e32 v36, v24, v25
	v_mul_f16_e32 v40, 0x3b47, v34
	v_fma_f16 v44, v31, s5, v39
	v_add_f16_e32 v42, v42, v43
	v_fma_f16 v10, v10, v33, -v22
	v_fma_f16 v9, v9, v32, -v21
	v_mul_f16_e32 v41, 0xbbeb, v36
	v_fma_f16 v45, v35, s8, v40
	v_add_f16_e32 v42, v42, v44
	v_add_f16_e32 v21, v9, v10
	;; [unrolled: 1-line block ×3, first 2 shown]
	v_fma_f16 v22, v21, s11, v41
	v_sub_f16_e32 v33, v5, v14
	v_fma_f16 v37, v27, s0, -v37
	v_add_f16_e32 v22, v42, v22
	v_add_f16_e32 v32, v3, v16
	v_mul_f16_e32 v42, 0xb482, v33
	v_sub_f16_e32 v45, v6, v13
	v_add_f16_sdwa v37, v37, v23 dst_sel:DWORD dst_unused:UNUSED_PAD src0_sel:DWORD src1_sel:WORD_1
	v_fma_f16 v38, v29, s4, -v38
	v_fma_f16 v43, v32, s0, -v42
	v_add_f16_e32 v44, v4, v15
	v_mul_f16_e32 v46, 0x3853, v45
	v_add_f16_e32 v37, v37, v38
	v_fma_f16 v38, v31, s5, -v39
	v_add_f16_e32 v43, v43, v23
	v_fma_f16 v47, v44, s4, -v46
	v_sub_f16_e32 v48, v7, v12
	v_add_f16_e32 v37, v37, v38
	v_fma_f16 v38, v35, s8, -v40
	v_add_f16_e32 v43, v43, v47
	v_add_f16_e32 v47, v17, v20
	v_mul_f16_e32 v49, 0xba0c, v48
	v_add_f16_e32 v37, v37, v38
	v_fma_f16 v38, v21, s11, -v41
	v_fma_f16 v50, v47, s5, -v49
	v_sub_f16_e32 v51, v8, v11
	v_add_f16_e32 v37, v37, v38
	v_fma_f16 v38, v32, s0, v42
	v_add_f16_e32 v43, v43, v50
	v_add_f16_e32 v50, v18, v19
	v_mul_f16_e32 v52, 0x3b47, v51
	v_add_f16_e32 v38, v38, v23
	v_fma_f16 v39, v44, s4, v46
	v_fma_f16 v53, v50, s8, -v52
	v_sub_f16_e32 v54, v9, v10
	v_add_f16_e32 v38, v38, v39
	v_fma_f16 v39, v47, s5, v49
	v_add_f16_e32 v43, v43, v53
	v_add_f16_e32 v53, v24, v25
	v_mul_f16_e32 v55, 0xbbeb, v54
	v_add_f16_e32 v38, v38, v39
	v_fma_f16 v39, v50, s8, v52
	v_add_f16_e32 v38, v38, v39
	v_fma_f16 v39, v53, s11, v55
	v_add_f16_e32 v38, v38, v39
	v_mul_f16_e32 v39, 0xb93d, v27
	v_fma_f16 v40, v26, s14, v39
	v_mul_f16_e32 v41, 0xb08e, v29
	v_add_f16_sdwa v40, v40, v23 dst_sel:DWORD dst_unused:UNUSED_PAD src0_sel:DWORD src1_sel:WORD_1
	v_fma_f16 v42, v28, s9, v41
	v_add_f16_e32 v40, v40, v42
	v_mul_f16_e32 v42, 0x3abb, v31
	v_fma_f16 v46, v30, s7, v42
	v_add_f16_e32 v40, v40, v46
	v_mul_f16_e32 v46, 0xbbad, v35
	;; [unrolled: 3-line block ×3, first 2 shown]
	v_fma_f16 v52, v36, s16, v49
	v_fma_f16 v56, v53, s11, -v55
	v_add_f16_e32 v40, v40, v52
	v_mul_f16_e32 v52, 0xba0c, v33
	v_add_f16_e32 v43, v43, v56
	v_fma_f16 v55, v32, s5, v52
	v_mul_f16_e32 v56, 0x3beb, v45
	v_add_f16_e32 v55, v55, v23
	v_fma_f16 v57, v44, s11, v56
	v_add_f16_e32 v55, v55, v57
	v_mul_f16_e32 v57, 0xb853, v48
	v_fma_f16 v58, v47, s4, v57
	v_add_f16_e32 v55, v55, v58
	v_mul_f16_e32 v58, 0xb482, v51
	;; [unrolled: 3-line block ×4, first 2 shown]
	v_fma_f16 v61, v26, s17, v60
	v_mul_f16_e32 v62, 0xbbad, v29
	v_add_f16_sdwa v61, v61, v23 dst_sel:DWORD dst_unused:UNUSED_PAD src0_sel:DWORD src1_sel:WORD_1
	v_fma_f16 v63, v28, s1, v62
	v_add_f16_e32 v61, v61, v63
	v_mul_f16_e32 v63, 0x36a6, v31
	v_fma_f16 v64, v30, s16, v63
	v_add_f16_e32 v61, v61, v64
	v_mul_f16_e32 v64, 0x3abb, v35
	;; [unrolled: 3-line block ×4, first 2 shown]
	v_fma_f16 v67, v32, s11, v66
	v_mul_f16_e32 v68, 0x3482, v45
	v_add_f16_e32 v67, v67, v23
	v_fma_f16 v69, v44, s0, v68
	v_add_f16_e32 v67, v67, v69
	v_mul_f16_e32 v69, 0x3b47, v48
	v_fma_f16 v70, v47, s8, v69
	v_add_f16_e32 v67, v67, v70
	v_mul_f16_e32 v70, 0xb853, v51
	;; [unrolled: 3-line block ×3, first 2 shown]
	v_fma_f16 v39, v26, s6, v39
	v_fma_f16 v72, v53, s5, v71
	v_add_f16_sdwa v39, v39, v23 dst_sel:DWORD dst_unused:UNUSED_PAD src0_sel:DWORD src1_sel:WORD_1
	v_fma_f16 v41, v28, s17, v41
	v_add_f16_e32 v67, v67, v72
	v_mul_f16_e32 v72, 0x36a6, v27
	v_add_f16_e32 v39, v39, v41
	v_fma_f16 v41, v30, s18, v42
	v_fma_f16 v73, v26, s10, v72
	v_mul_f16_e32 v74, 0xb93d, v29
	v_add_f16_e32 v39, v39, v41
	v_fma_f16 v41, v34, s1, v46
	v_add_f16_sdwa v73, v73, v23 dst_sel:DWORD dst_unused:UNUSED_PAD src0_sel:DWORD src1_sel:WORD_1
	v_fma_f16 v75, v28, s14, v74
	v_add_f16_e32 v39, v39, v41
	v_fma_f16 v41, v36, s10, v49
	v_add_f16_e32 v73, v73, v75
	v_mul_f16_e32 v75, 0xbbad, v31
	v_add_f16_e32 v39, v39, v41
	v_fma_f16 v41, v32, s5, -v52
	v_fma_f16 v76, v30, s1, v75
	v_add_f16_e32 v41, v41, v23
	v_fma_f16 v42, v44, s11, -v56
	v_add_f16_e32 v73, v73, v76
	v_mul_f16_e32 v76, 0xb08e, v35
	v_add_f16_e32 v41, v41, v42
	v_fma_f16 v42, v47, s4, -v57
	v_fma_f16 v77, v34, s9, v76
	v_add_f16_e32 v41, v41, v42
	v_fma_f16 v42, v50, s0, -v58
	v_add_f16_e32 v73, v73, v77
	v_mul_f16_e32 v77, 0x3abb, v21
	v_add_f16_e32 v41, v41, v42
	v_fma_f16 v42, v53, s8, -v59
	v_fma_f16 v78, v36, s18, v77
	v_add_f16_e32 v41, v41, v42
	v_fma_f16 v42, v26, s9, v60
	v_add_f16_e32 v73, v73, v78
	v_mul_f16_e32 v78, 0xbb47, v33
	v_add_f16_sdwa v42, v42, v23 dst_sel:DWORD dst_unused:UNUSED_PAD src0_sel:DWORD src1_sel:WORD_1
	v_fma_f16 v46, v28, s15, v62
	v_fma_f16 v79, v32, s8, v78
	v_mul_f16_e32 v80, 0xba0c, v45
	v_add_f16_e32 v42, v42, v46
	v_fma_f16 v46, v30, s10, v63
	v_add_f16_e32 v79, v79, v23
	v_fma_f16 v81, v44, s5, v80
	;; [unrolled: 2-line block ×3, first 2 shown]
	v_add_f16_e32 v79, v79, v81
	v_mul_f16_e32 v81, 0x3482, v48
	v_add_f16_e32 v42, v42, v46
	v_fma_f16 v46, v36, s6, v65
	v_fma_f16 v82, v47, s0, v81
	v_add_f16_e32 v42, v42, v46
	v_fma_f16 v46, v32, s11, -v66
	v_add_f16_e32 v79, v79, v82
	v_mul_f16_e32 v82, 0x3beb, v51
	v_add_f16_e32 v46, v46, v23
	v_fma_f16 v49, v44, s0, -v68
	v_fma_f16 v83, v50, s11, v82
	v_add_f16_e32 v46, v46, v49
	v_fma_f16 v49, v47, s8, -v69
	v_add_f16_e32 v79, v79, v83
	v_mul_f16_e32 v83, 0x3853, v54
	v_add_f16_e32 v46, v46, v49
	v_fma_f16 v49, v50, s4, -v70
	v_fma_f16 v84, v53, s4, v83
	v_mul_f16_e32 v27, 0x3abb, v27
	v_add_f16_e32 v46, v46, v49
	v_fma_f16 v49, v53, s5, -v71
	v_add_f16_e32 v79, v79, v84
	v_fma_f16 v84, v26, s7, v27
	v_mul_f16_e32 v29, 0x36a6, v29
	v_add_f16_e32 v46, v46, v49
	v_fma_f16 v49, v26, s16, v72
	v_fma_f16 v26, v26, s18, v27
	v_add_f16_sdwa v5, v5, v23 dst_sel:DWORD dst_unused:UNUSED_PAD src0_sel:DWORD src1_sel:WORD_1
	v_add_f16_sdwa v84, v84, v23 dst_sel:DWORD dst_unused:UNUSED_PAD src0_sel:DWORD src1_sel:WORD_1
	v_fma_f16 v85, v28, s10, v29
	v_mul_f16_e32 v31, 0xb08e, v31
	v_add_f16_sdwa v26, v26, v23 dst_sel:DWORD dst_unused:UNUSED_PAD src0_sel:DWORD src1_sel:WORD_1
	v_fma_f16 v27, v28, s16, v29
	v_add_f16_e32 v5, v5, v6
	v_add_f16_e32 v84, v84, v85
	v_fma_f16 v85, v30, s17, v31
	v_mul_f16_e32 v35, 0xb93d, v35
	v_add_f16_e32 v26, v26, v27
	v_fma_f16 v27, v30, s9, v31
	v_add_f16_e32 v5, v5, v7
	v_add_f16_e32 v84, v84, v85
	v_fma_f16 v85, v34, s14, v35
	v_mul_f16_e32 v21, 0xbbad, v21
	v_add_f16_sdwa v49, v49, v23 dst_sel:DWORD dst_unused:UNUSED_PAD src0_sel:DWORD src1_sel:WORD_1
	v_fma_f16 v52, v28, s6, v74
	v_add_f16_e32 v26, v26, v27
	v_fma_f16 v27, v34, s6, v35
	v_add_f16_e32 v5, v5, v8
	v_add_f16_e32 v84, v84, v85
	v_fma_f16 v85, v36, s15, v21
	v_mul_f16_e32 v33, 0xb853, v33
	v_add_f16_e32 v49, v49, v52
	v_fma_f16 v52, v30, s15, v75
	v_add_f16_e32 v26, v26, v27
	v_fma_f16 v21, v36, s1, v21
	v_add_f16_e32 v5, v5, v9
	v_add_f16_e32 v84, v84, v85
	v_fma_f16 v85, v32, s4, v33
	v_mul_f16_e32 v45, 0xbb47, v45
	v_add_f16_e32 v49, v49, v52
	v_fma_f16 v52, v34, s17, v76
	v_add_f16_e32 v21, v26, v21
	v_fma_f16 v26, v32, s4, -v33
	v_add_f16_e32 v5, v5, v10
	v_add_f16_e32 v3, v3, v23
	;; [unrolled: 1-line block ×3, first 2 shown]
	v_fma_f16 v86, v44, s8, v45
	v_mul_f16_e32 v48, 0xbbeb, v48
	v_add_f16_e32 v49, v49, v52
	v_fma_f16 v52, v36, s7, v77
	v_add_f16_e32 v26, v26, v23
	v_fma_f16 v27, v44, s8, -v45
	v_add_f16_e32 v5, v11, v5
	v_add_f16_e32 v3, v3, v4
	;; [unrolled: 1-line block ×3, first 2 shown]
	v_fma_f16 v86, v47, s11, v48
	v_mul_f16_e32 v51, 0xba0c, v51
	v_add_f16_e32 v49, v49, v52
	v_fma_f16 v52, v32, s8, -v78
	v_add_f16_e32 v26, v26, v27
	v_fma_f16 v27, v47, s11, -v48
	v_add_f16_e32 v5, v12, v5
	v_add_f16_e32 v3, v3, v17
	;; [unrolled: 1-line block ×3, first 2 shown]
	v_fma_f16 v86, v50, s5, v51
	v_mul_f16_e32 v54, 0xb482, v54
	v_add_f16_e32 v52, v52, v23
	v_fma_f16 v56, v44, s5, -v80
	v_add_f16_e32 v26, v26, v27
	v_fma_f16 v27, v50, s5, -v51
	v_add_f16_e32 v5, v13, v5
	v_add_f16_e32 v3, v3, v18
	;; [unrolled: 1-line block ×3, first 2 shown]
	v_fma_f16 v86, v53, s0, v54
	v_add_f16_e32 v52, v52, v56
	v_fma_f16 v56, v47, s0, -v81
	v_add_f16_e32 v26, v26, v27
	v_fma_f16 v27, v53, s0, -v54
	v_add_f16_sdwa v6, v14, v5 dst_sel:WORD_1 dst_unused:UNUSED_PAD src0_sel:DWORD src1_sel:DWORD
	v_add_f16_e32 v5, v3, v24
	v_mad_u64_u32 v[3:4], s[0:1], s2, v0, 0
	v_add_f16_e32 v5, v5, v25
	v_add_f16_e32 v5, v19, v5
	;; [unrolled: 1-line block ×3, first 2 shown]
	v_mad_u64_u32 v[4:5], s[0:1], s3, v0, v[4:5]
	v_add_f16_e32 v5, v15, v7
	v_add_f16_e32 v5, v16, v5
	v_or_b32_e32 v7, v6, v5
	v_mov_b32_e32 v5, s13
	v_add_co_u32_e32 v8, vcc, s12, v1
	v_addc_co_u32_e32 v9, vcc, v5, v2, vcc
	v_add_u32_e32 v5, 13, v0
	v_lshlrev_b64 v[1:2], 2, v[3:4]
	v_mad_u64_u32 v[3:4], s[0:1], s2, v5, 0
	v_add_u32_e32 v10, 26, v0
	v_add_co_u32_e32 v1, vcc, v8, v1
	v_mad_u64_u32 v[4:5], s[0:1], s3, v5, v[4:5]
	v_mad_u64_u32 v[5:6], s[0:1], s2, v10, 0
	v_addc_co_u32_e32 v2, vcc, v9, v2, vcc
	global_store_dword v[1:2], v7, off
	v_lshlrev_b64 v[1:2], 2, v[3:4]
	v_mov_b32_e32 v3, v6
	v_mad_u64_u32 v[3:4], s[0:1], s3, v10, v[3:4]
	v_add_f16_e32 v85, v85, v86
	v_add_co_u32_e32 v1, vcc, v8, v1
	v_addc_co_u32_e32 v2, vcc, v9, v2, vcc
	v_pack_b32_f16 v4, v85, v84
	v_mov_b32_e32 v6, v3
	global_store_dword v[1:2], v4, off
	v_lshlrev_b64 v[1:2], 2, v[5:6]
	v_add_u32_e32 v5, 39, v0
	v_mad_u64_u32 v[3:4], s[0:1], s2, v5, 0
	v_add_u32_e32 v10, 52, v0
	v_add_co_u32_e32 v1, vcc, v8, v1
	v_mad_u64_u32 v[4:5], s[0:1], s3, v5, v[4:5]
	v_mad_u64_u32 v[5:6], s[0:1], s2, v10, 0
	v_addc_co_u32_e32 v2, vcc, v9, v2, vcc
	v_pack_b32_f16 v7, v79, v73
	global_store_dword v[1:2], v7, off
	v_lshlrev_b64 v[1:2], 2, v[3:4]
	v_mov_b32_e32 v3, v6
	v_mad_u64_u32 v[3:4], s[0:1], s3, v10, v[3:4]
	v_add_co_u32_e32 v1, vcc, v8, v1
	v_addc_co_u32_e32 v2, vcc, v9, v2, vcc
	v_pack_b32_f16 v4, v67, v61
	v_mov_b32_e32 v6, v3
	global_store_dword v[1:2], v4, off
	v_lshlrev_b64 v[1:2], 2, v[5:6]
	v_add_u32_e32 v5, 0x41, v0
	v_mad_u64_u32 v[3:4], s[0:1], s2, v5, 0
	v_add_u32_e32 v10, 0x4e, v0
	v_add_co_u32_e32 v1, vcc, v8, v1
	v_mad_u64_u32 v[4:5], s[0:1], s3, v5, v[4:5]
	v_mad_u64_u32 v[5:6], s[0:1], s2, v10, 0
	v_addc_co_u32_e32 v2, vcc, v9, v2, vcc
	v_pack_b32_f16 v7, v55, v40
	global_store_dword v[1:2], v7, off
	v_lshlrev_b64 v[1:2], 2, v[3:4]
	v_mov_b32_e32 v3, v6
	v_mad_u64_u32 v[3:4], s[0:1], s3, v10, v[3:4]
	;; [unrolled: 18-line block ×3, first 2 shown]
	v_add_co_u32_e32 v1, vcc, v8, v1
	v_addc_co_u32_e32 v2, vcc, v9, v2, vcc
	v_pack_b32_f16 v4, v41, v39
	v_mov_b32_e32 v6, v3
	global_store_dword v[1:2], v4, off
	v_lshlrev_b64 v[1:2], 2, v[5:6]
	v_add_u32_e32 v5, 0x75, v0
	v_mad_u64_u32 v[3:4], s[0:1], s2, v5, 0
	v_add_u32_e32 v10, 0x82, v0
	v_add_co_u32_e32 v1, vcc, v8, v1
	v_mad_u64_u32 v[4:5], s[0:1], s3, v5, v[4:5]
	v_mad_u64_u32 v[5:6], s[0:1], s2, v10, 0
	v_addc_co_u32_e32 v2, vcc, v9, v2, vcc
	v_pack_b32_f16 v7, v46, v42
	global_store_dword v[1:2], v7, off
	v_mov_b32_e32 v2, v6
	v_lshlrev_b64 v[0:1], 2, v[3:4]
	v_mad_u64_u32 v[2:3], s[0:1], s3, v10, v[2:3]
	v_add_f16_e32 v52, v52, v56
	v_fma_f16 v56, v50, s11, -v82
	v_add_f16_e32 v52, v52, v56
	v_fma_f16 v56, v53, s4, -v83
	v_add_f16_e32 v52, v52, v56
	v_add_co_u32_e32 v0, vcc, v8, v0
	v_addc_co_u32_e32 v1, vcc, v9, v1, vcc
	v_pack_b32_f16 v3, v52, v49
	v_mov_b32_e32 v6, v2
	global_store_dword v[0:1], v3, off
	v_lshlrev_b64 v[0:1], 2, v[5:6]
	v_add_f16_e32 v26, v26, v27
	v_add_co_u32_e32 v0, vcc, v8, v0
	v_addc_co_u32_e32 v1, vcc, v9, v1, vcc
	v_pack_b32_f16 v2, v26, v21
	global_store_dword v[0:1], v2, off
.LBB0_16:
	s_endpgm
	.section	.rodata,"a",@progbits
	.p2align	6, 0x0
	.amdhsa_kernel fft_rtc_back_len143_factors_13_11_wgs_182_tpt_13_half_ip_CI_sbrr_dirReg
		.amdhsa_group_segment_fixed_size 0
		.amdhsa_private_segment_fixed_size 0
		.amdhsa_kernarg_size 88
		.amdhsa_user_sgpr_count 6
		.amdhsa_user_sgpr_private_segment_buffer 1
		.amdhsa_user_sgpr_dispatch_ptr 0
		.amdhsa_user_sgpr_queue_ptr 0
		.amdhsa_user_sgpr_kernarg_segment_ptr 1
		.amdhsa_user_sgpr_dispatch_id 0
		.amdhsa_user_sgpr_flat_scratch_init 0
		.amdhsa_user_sgpr_private_segment_size 0
		.amdhsa_uses_dynamic_stack 0
		.amdhsa_system_sgpr_private_segment_wavefront_offset 0
		.amdhsa_system_sgpr_workgroup_id_x 1
		.amdhsa_system_sgpr_workgroup_id_y 0
		.amdhsa_system_sgpr_workgroup_id_z 0
		.amdhsa_system_sgpr_workgroup_info 0
		.amdhsa_system_vgpr_workitem_id 0
		.amdhsa_next_free_vgpr 106
		.amdhsa_next_free_sgpr 24
		.amdhsa_reserve_vcc 1
		.amdhsa_reserve_flat_scratch 0
		.amdhsa_float_round_mode_32 0
		.amdhsa_float_round_mode_16_64 0
		.amdhsa_float_denorm_mode_32 3
		.amdhsa_float_denorm_mode_16_64 3
		.amdhsa_dx10_clamp 1
		.amdhsa_ieee_mode 1
		.amdhsa_fp16_overflow 0
		.amdhsa_exception_fp_ieee_invalid_op 0
		.amdhsa_exception_fp_denorm_src 0
		.amdhsa_exception_fp_ieee_div_zero 0
		.amdhsa_exception_fp_ieee_overflow 0
		.amdhsa_exception_fp_ieee_underflow 0
		.amdhsa_exception_fp_ieee_inexact 0
		.amdhsa_exception_int_div_zero 0
	.end_amdhsa_kernel
	.text
.Lfunc_end0:
	.size	fft_rtc_back_len143_factors_13_11_wgs_182_tpt_13_half_ip_CI_sbrr_dirReg, .Lfunc_end0-fft_rtc_back_len143_factors_13_11_wgs_182_tpt_13_half_ip_CI_sbrr_dirReg
                                        ; -- End function
	.section	.AMDGPU.csdata,"",@progbits
; Kernel info:
; codeLenInByte = 7800
; NumSgprs: 28
; NumVgprs: 106
; ScratchSize: 0
; MemoryBound: 0
; FloatMode: 240
; IeeeMode: 1
; LDSByteSize: 0 bytes/workgroup (compile time only)
; SGPRBlocks: 3
; VGPRBlocks: 26
; NumSGPRsForWavesPerEU: 28
; NumVGPRsForWavesPerEU: 106
; Occupancy: 2
; WaveLimiterHint : 1
; COMPUTE_PGM_RSRC2:SCRATCH_EN: 0
; COMPUTE_PGM_RSRC2:USER_SGPR: 6
; COMPUTE_PGM_RSRC2:TRAP_HANDLER: 0
; COMPUTE_PGM_RSRC2:TGID_X_EN: 1
; COMPUTE_PGM_RSRC2:TGID_Y_EN: 0
; COMPUTE_PGM_RSRC2:TGID_Z_EN: 0
; COMPUTE_PGM_RSRC2:TIDIG_COMP_CNT: 0
	.type	__hip_cuid_d114bb298bedd209,@object ; @__hip_cuid_d114bb298bedd209
	.section	.bss,"aw",@nobits
	.globl	__hip_cuid_d114bb298bedd209
__hip_cuid_d114bb298bedd209:
	.byte	0                               ; 0x0
	.size	__hip_cuid_d114bb298bedd209, 1

	.ident	"AMD clang version 19.0.0git (https://github.com/RadeonOpenCompute/llvm-project roc-6.4.0 25133 c7fe45cf4b819c5991fe208aaa96edf142730f1d)"
	.section	".note.GNU-stack","",@progbits
	.addrsig
	.addrsig_sym __hip_cuid_d114bb298bedd209
	.amdgpu_metadata
---
amdhsa.kernels:
  - .args:
      - .actual_access:  read_only
        .address_space:  global
        .offset:         0
        .size:           8
        .value_kind:     global_buffer
      - .offset:         8
        .size:           8
        .value_kind:     by_value
      - .actual_access:  read_only
        .address_space:  global
        .offset:         16
        .size:           8
        .value_kind:     global_buffer
      - .actual_access:  read_only
        .address_space:  global
        .offset:         24
        .size:           8
        .value_kind:     global_buffer
      - .offset:         32
        .size:           8
        .value_kind:     by_value
      - .actual_access:  read_only
        .address_space:  global
        .offset:         40
        .size:           8
        .value_kind:     global_buffer
      - .actual_access:  read_only
        .address_space:  global
        .offset:         48
        .size:           8
        .value_kind:     global_buffer
      - .offset:         56
        .size:           4
        .value_kind:     by_value
      - .actual_access:  read_only
        .address_space:  global
        .offset:         64
        .size:           8
        .value_kind:     global_buffer
      - .actual_access:  read_only
        .address_space:  global
        .offset:         72
        .size:           8
        .value_kind:     global_buffer
      - .address_space:  global
        .offset:         80
        .size:           8
        .value_kind:     global_buffer
    .group_segment_fixed_size: 0
    .kernarg_segment_align: 8
    .kernarg_segment_size: 88
    .language:       OpenCL C
    .language_version:
      - 2
      - 0
    .max_flat_workgroup_size: 182
    .name:           fft_rtc_back_len143_factors_13_11_wgs_182_tpt_13_half_ip_CI_sbrr_dirReg
    .private_segment_fixed_size: 0
    .sgpr_count:     28
    .sgpr_spill_count: 0
    .symbol:         fft_rtc_back_len143_factors_13_11_wgs_182_tpt_13_half_ip_CI_sbrr_dirReg.kd
    .uniform_work_group_size: 1
    .uses_dynamic_stack: false
    .vgpr_count:     106
    .vgpr_spill_count: 0
    .wavefront_size: 64
amdhsa.target:   amdgcn-amd-amdhsa--gfx906
amdhsa.version:
  - 1
  - 2
...

	.end_amdgpu_metadata
